;; amdgpu-corpus repo=ROCm/rocFFT kind=compiled arch=gfx950 opt=O3
	.text
	.amdgcn_target "amdgcn-amd-amdhsa--gfx950"
	.amdhsa_code_object_version 6
	.protected	bluestein_single_fwd_len240_dim1_sp_op_CI_CI ; -- Begin function bluestein_single_fwd_len240_dim1_sp_op_CI_CI
	.globl	bluestein_single_fwd_len240_dim1_sp_op_CI_CI
	.p2align	8
	.type	bluestein_single_fwd_len240_dim1_sp_op_CI_CI,@function
bluestein_single_fwd_len240_dim1_sp_op_CI_CI: ; @bluestein_single_fwd_len240_dim1_sp_op_CI_CI
; %bb.0:
	s_load_dwordx4 s[8:11], s[0:1], 0x28
	v_mul_u32_u24_e32 v1, 0x556, v0
	v_lshrrev_b32_e32 v1, 16, v1
	v_lshl_add_u32 v32, s2, 1, v1
	v_mov_b32_e32 v33, 0
	s_waitcnt lgkmcnt(0)
	v_cmp_gt_u64_e32 vcc, s[8:9], v[32:33]
	s_and_saveexec_b64 s[2:3], vcc
	s_cbranch_execz .LBB0_23
; %bb.1:
	s_load_dwordx2 s[2:3], s[0:1], 0x0
	s_load_dwordx2 s[8:9], s[0:1], 0x38
	v_mul_lo_u16_e32 v2, 48, v1
	v_and_b32_e32 v1, 1, v1
	v_sub_u16_e32 v33, v0, v2
	v_mov_b32_e32 v0, 0xf0
	v_cmp_eq_u32_e32 vcc, 1, v1
	v_lshlrev_b32_e32 v52, 3, v33
	s_nop 0
	v_cndmask_b32_e32 v54, 0, v0, vcc
	v_cmp_gt_u16_e32 vcc, 30, v33
	v_lshlrev_b32_e32 v53, 3, v54
	s_and_saveexec_b64 s[12:13], vcc
	s_cbranch_execz .LBB0_3
; %bb.2:
	s_load_dwordx2 s[4:5], s[0:1], 0x18
	v_mov_b32_e32 v2, s10
	v_mov_b32_e32 v3, s11
	v_lshl_add_u32 v36, v33, 3, v53
	v_add_u32_e32 v37, v53, v52
	s_waitcnt lgkmcnt(0)
	s_load_dwordx4 s[4:7], s[4:5], 0x0
	s_waitcnt lgkmcnt(0)
	v_mad_u64_u32 v[4:5], s[10:11], s6, v32, 0
	v_mad_u64_u32 v[6:7], s[10:11], s4, v33, 0
	v_mov_b32_e32 v8, v5
	v_mov_b32_e32 v10, v7
	v_mad_u64_u32 v[8:9], s[6:7], s7, v32, v[8:9]
	v_mov_b32_e32 v5, v8
	v_mad_u64_u32 v[8:9], s[6:7], s5, v33, v[10:11]
	v_mov_b32_e32 v7, v8
	v_lshl_add_u64 v[2:3], v[4:5], 3, v[2:3]
	v_lshl_add_u64 v[2:3], v[6:7], 3, v[2:3]
	global_load_dwordx2 v[4:5], v[2:3], off
	v_mad_u64_u32 v[2:3], s[6:7], s4, v0, v[2:3]
	s_mul_i32 s10, s5, 0xf0
	v_add_u32_e32 v3, s10, v3
	v_mad_u64_u32 v[10:11], s[6:7], s4, v0, v[2:3]
	v_add_u32_e32 v11, s10, v11
	global_load_dwordx2 v[6:7], v52, s[2:3]
	global_load_dwordx2 v[8:9], v52, s[2:3] offset:240
	global_load_dwordx2 v[12:13], v[2:3], off
	global_load_dwordx2 v[14:15], v[10:11], off
	v_mad_u64_u32 v[2:3], s[6:7], s4, v0, v[10:11]
	v_add_u32_e32 v3, s10, v3
	v_mad_u64_u32 v[18:19], s[6:7], s4, v0, v[2:3]
	global_load_dwordx2 v[10:11], v52, s[2:3] offset:480
	global_load_dwordx2 v[16:17], v52, s[2:3] offset:720
	v_add_u32_e32 v19, s10, v19
	global_load_dwordx2 v[2:3], v[2:3], off
	s_nop 0
	global_load_dwordx2 v[20:21], v[18:19], off
	global_load_dwordx2 v[22:23], v52, s[2:3] offset:960
	v_mad_u64_u32 v[18:19], s[6:7], s4, v0, v[18:19]
	v_add_u32_e32 v19, s10, v19
	global_load_dwordx2 v[24:25], v[18:19], off
	global_load_dwordx2 v[26:27], v52, s[2:3] offset:1200
	v_mad_u64_u32 v[18:19], s[6:7], s4, v0, v[18:19]
	v_add_u32_e32 v19, s10, v19
	;; [unrolled: 4-line block ×3, first 2 shown]
	global_load_dwordx2 v[18:19], v52, s[2:3] offset:1680
	global_load_dwordx2 v[34:35], v[0:1], off
	s_waitcnt vmcnt(14)
	v_mul_f32_e32 v0, v5, v7
	v_mul_f32_e32 v1, v4, v7
	v_fmac_f32_e32 v0, v4, v6
	v_fma_f32 v1, v5, v6, -v1
	ds_write_b64 v36, v[0:1]
	s_waitcnt vmcnt(12)
	v_mul_f32_e32 v0, v13, v9
	v_mul_f32_e32 v1, v12, v9
	v_fmac_f32_e32 v0, v12, v8
	s_waitcnt vmcnt(10)
	v_mul_f32_e32 v4, v15, v11
	v_mul_f32_e32 v5, v14, v11
	v_fma_f32 v1, v13, v8, -v1
	v_fmac_f32_e32 v4, v14, v10
	v_fma_f32 v5, v15, v10, -v5
	ds_write2_b64 v37, v[0:1], v[4:5] offset0:30 offset1:60
	s_waitcnt vmcnt(8)
	v_mul_f32_e32 v0, v3, v17
	v_mul_f32_e32 v1, v2, v17
	v_fmac_f32_e32 v0, v2, v16
	v_fma_f32 v1, v3, v16, -v1
	s_waitcnt vmcnt(6)
	v_mul_f32_e32 v2, v21, v23
	v_mul_f32_e32 v3, v20, v23
	v_fmac_f32_e32 v2, v20, v22
	v_fma_f32 v3, v21, v22, -v3
	ds_write2_b64 v37, v[0:1], v[2:3] offset0:90 offset1:120
	s_waitcnt vmcnt(4)
	v_mul_f32_e32 v0, v25, v27
	v_mul_f32_e32 v1, v24, v27
	s_waitcnt vmcnt(2)
	v_mul_f32_e32 v2, v29, v31
	v_mul_f32_e32 v3, v28, v31
	v_fmac_f32_e32 v0, v24, v26
	v_fma_f32 v1, v25, v26, -v1
	v_fmac_f32_e32 v2, v28, v30
	v_fma_f32 v3, v29, v30, -v3
	ds_write2_b64 v37, v[0:1], v[2:3] offset0:150 offset1:180
	s_waitcnt vmcnt(0)
	v_mul_f32_e32 v0, v35, v19
	v_mul_f32_e32 v1, v34, v19
	v_fmac_f32_e32 v0, v34, v18
	v_fma_f32 v1, v35, v18, -v1
	ds_write_b64 v37, v[0:1] offset:1680
.LBB0_3:
	s_or_b64 exec, exec, s[12:13]
	s_load_dwordx2 s[4:5], s[0:1], 0x20
	s_load_dwordx2 s[10:11], s[0:1], 0x8
	s_waitcnt lgkmcnt(0)
	s_barrier
	s_waitcnt lgkmcnt(0)
                                        ; implicit-def: $vgpr3
                                        ; implicit-def: $vgpr0
                                        ; implicit-def: $vgpr15
                                        ; implicit-def: $vgpr10
                                        ; implicit-def: $vgpr5
                                        ; implicit-def: $vgpr6
                                        ; implicit-def: $vgpr9
                                        ; implicit-def: $vgpr12
	s_and_saveexec_b64 s[0:1], vcc
	s_cbranch_execz .LBB0_5
; %bb.4:
	v_lshl_add_u32 v0, v54, 3, v52
	ds_read2_b64 v[4:7], v0 offset0:180 offset1:210
	ds_read2_b64 v[16:19], v0 offset1:30
	ds_read2_b64 v[20:23], v0 offset0:60 offset1:90
	ds_read2_b64 v[8:11], v0 offset0:120 offset1:150
	s_waitcnt lgkmcnt(3)
	v_mov_b32_e32 v3, v6
	v_mov_b32_e32 v0, v7
	;; [unrolled: 1-line block ×4, first 2 shown]
	s_waitcnt lgkmcnt(0)
	v_mov_b32_e32 v15, v10
	v_mov_b32_e32 v10, v11
	v_mov_b32_e32 v14, v8
	v_mov_b32_e32 v11, v9
	v_mov_b32_e32 v5, v22
	v_mov_b32_e32 v6, v23
	v_mov_b32_e32 v4, v20
	v_mov_b32_e32 v7, v21
	v_mov_b32_e32 v9, v18
	v_mov_b32_e32 v12, v19
	v_mov_b32_e32 v8, v16
	v_mov_b32_e32 v13, v17
.LBB0_5:
	s_or_b64 exec, exec, s[0:1]
	v_pk_add_f32 v[14:15], v[8:9], v[14:15] neg_lo:[0,1] neg_hi:[0,1]
	v_pk_add_f32 v[10:11], v[12:13], v[10:11] neg_lo:[0,1] neg_hi:[0,1]
	;; [unrolled: 1-line block ×4, first 2 shown]
	v_mov_b32_e32 v2, v15
	v_pk_add_f32 v[18:19], v[2:3], v[0:1] neg_lo:[0,1] neg_hi:[0,1]
	v_mov_b32_e32 v3, v10
	v_pk_add_f32 v[20:21], v[16:17], v[2:3]
	v_pk_fma_f32 v[2:3], v[8:9], 2.0, v[14:15] op_sel_hi:[1,0,1] neg_lo:[0,0,1] neg_hi:[0,0,1]
	v_pk_fma_f32 v[6:7], v[6:7], 2.0, v[0:1] op_sel_hi:[1,0,1] neg_lo:[0,0,1] neg_hi:[0,0,1]
	v_mov_b32_e32 v9, v16
	v_mov_b32_e32 v0, v1
	;; [unrolled: 1-line block ×3, first 2 shown]
	v_pk_add_f32 v[0:1], v[14:15], v[0:1] neg_lo:[0,1] neg_hi:[0,1]
	v_pk_add_f32 v[8:9], v[8:9], v[10:11]
	v_mov_b32_e32 v19, v21
	v_mov_b32_e32 v1, v9
	;; [unrolled: 1-line block ×6, first 2 shown]
	v_pk_fma_f32 v[12:13], v[12:13], 2.0, v[10:11] op_sel_hi:[1,0,1] neg_lo:[0,0,1] neg_hi:[0,0,1]
	v_pk_fma_f32 v[10:11], v[14:15], 2.0, v[18:19] op_sel_hi:[1,0,1] neg_lo:[0,0,1] neg_hi:[0,0,1]
	s_mov_b32 s0, 0x3f3504f3
	v_pk_fma_f32 v[14:15], v[8:9], 2.0, v[0:1] op_sel_hi:[1,0,1] neg_lo:[0,0,1] neg_hi:[0,0,1]
	v_pk_fma_f32 v[4:5], v[4:5], 2.0, v[16:17] op_sel_hi:[1,0,1] neg_lo:[0,0,1] neg_hi:[0,0,1]
	v_pk_mul_f32 v[16:17], v[10:11], s[0:1] op_sel_hi:[1,0]
	v_pk_fma_f32 v[8:9], v[10:11], s[0:1], v[14:15] op_sel_hi:[1,0,1] neg_lo:[1,0,0] neg_hi:[1,0,0]
	v_pk_add_f32 v[4:5], v[2:3], v[4:5] neg_lo:[0,1] neg_hi:[0,1]
	v_pk_add_f32 v[6:7], v[12:13], v[6:7] neg_lo:[0,1] neg_hi:[0,1]
	v_pk_add_f32 v[10:11], v[8:9], v[16:17] op_sel:[0,1] op_sel_hi:[1,0]
	v_pk_add_f32 v[22:23], v[8:9], v[16:17] op_sel:[0,1] op_sel_hi:[1,0] neg_lo:[0,1] neg_hi:[0,1]
	v_pk_add_f32 v[8:9], v[4:5], v[6:7] neg_lo:[0,1] neg_hi:[0,1]
	v_mov_b32_e32 v23, v11
	v_pk_add_f32 v[10:11], v[4:5], v[6:7]
	v_pk_mul_f32 v[16:17], v[18:19], s[0:1] op_sel_hi:[1,0]
	v_pk_fma_f32 v[18:19], v[18:19], s[0:1], v[0:1] op_sel_hi:[1,0,1]
	v_mov_b32_e32 v9, v11
	v_pk_add_f32 v[10:11], v[18:19], v[16:17] op_sel:[0,1] op_sel_hi:[1,0] neg_lo:[0,1] neg_hi:[0,1]
	v_pk_add_f32 v[16:17], v[18:19], v[16:17] op_sel:[0,1] op_sel_hi:[1,0]
	v_lshlrev_b16_e32 v56, 3, v33
	v_mov_b32_e32 v11, v17
	s_barrier
	s_and_saveexec_b64 s[0:1], vcc
	s_cbranch_execz .LBB0_7
; %bb.6:
	v_mov_b32_e32 v16, v2
	v_mov_b32_e32 v17, v13
	;; [unrolled: 1-line block ×8, first 2 shown]
	v_pk_fma_f32 v[16:17], v[16:17], 2.0, v[18:19] op_sel_hi:[1,0,1] neg_lo:[0,0,1] neg_hi:[0,0,1]
	v_pk_fma_f32 v[2:3], v[2:3], 2.0, v[4:5] op_sel_hi:[1,0,1] neg_lo:[0,0,1] neg_hi:[0,0,1]
	v_add_lshl_u32 v24, v54, v56, 3
	v_pk_add_f32 v[20:21], v[16:17], v[2:3] neg_lo:[0,1] neg_hi:[0,1]
	v_pk_fma_f32 v[4:5], v[14:15], 2.0, v[22:23] op_sel_hi:[1,0,1] neg_lo:[0,0,1] neg_hi:[0,0,1]
	v_pk_fma_f32 v[2:3], v[16:17], 2.0, v[20:21] op_sel_hi:[1,0,1] neg_lo:[0,0,1] neg_hi:[0,0,1]
	ds_write_b128 v24, v[2:5]
	v_pk_fma_f32 v[2:3], v[18:19], 2.0, v[8:9] op_sel_hi:[1,0,1] neg_lo:[0,0,1] neg_hi:[0,0,1]
	v_pk_fma_f32 v[4:5], v[0:1], 2.0, v[10:11] op_sel_hi:[1,0,1] neg_lo:[0,0,1] neg_hi:[0,0,1]
	ds_write_b128 v24, v[2:5] offset:16
	ds_write_b128 v24, v[20:23] offset:32
	;; [unrolled: 1-line block ×3, first 2 shown]
.LBB0_7:
	s_or_b64 exec, exec, s[0:1]
	v_and_b32_e32 v24, 7, v33
	v_lshlrev_b32_e32 v12, 5, v24
	s_load_dwordx4 s[4:7], s[4:5], 0x0
	s_waitcnt lgkmcnt(0)
	s_barrier
	global_load_dwordx4 v[4:7], v12, s[10:11]
	global_load_dwordx4 v[0:3], v12, s[10:11] offset:16
	v_add_lshl_u32 v55, v54, v33, 3
	ds_read2_b64 v[12:15], v55 offset1:48
	ds_read2_b64 v[16:19], v55 offset0:96 offset1:144
	ds_read_b64 v[20:21], v55 offset:1536
	v_lshrrev_b32_e32 v25, 3, v33
	v_mul_u32_u24_e32 v25, 40, v25
	v_or_b32_e32 v24, v25, v24
	v_add_lshl_u32 v57, v54, v24, 3
	s_mov_b32 s0, 0x3f737871
	s_mov_b32 s12, 0x3f167918
	;; [unrolled: 1-line block ×3, first 2 shown]
	s_waitcnt lgkmcnt(0)
	s_barrier
	s_waitcnt vmcnt(1)
	v_pk_mul_f32 v[24:25], v[14:15], v[4:5] op_sel:[0,1]
	v_mov_b32_e32 v26, v7
	s_waitcnt vmcnt(0)
	v_pk_mul_f32 v[28:29], v[18:19], v[0:1] op_sel:[0,1]
	v_mov_b32_e32 v30, v3
	v_pk_fma_f32 v[34:35], v[14:15], v[4:5], v[24:25] op_sel:[0,0,1] op_sel_hi:[1,1,0] neg_lo:[0,0,1] neg_hi:[0,0,1]
	v_pk_fma_f32 v[14:15], v[14:15], v[4:5], v[24:25] op_sel:[0,0,1] op_sel_hi:[1,0,0]
	v_pk_mul_f32 v[24:25], v[16:17], v[26:27] op_sel_hi:[1,0]
	v_pk_fma_f32 v[26:27], v[18:19], v[0:1], v[28:29] op_sel:[0,0,1] op_sel_hi:[1,1,0] neg_lo:[0,0,1] neg_hi:[0,0,1]
	v_pk_fma_f32 v[18:19], v[18:19], v[0:1], v[28:29] op_sel:[0,0,1] op_sel_hi:[1,0,0]
	v_pk_mul_f32 v[28:29], v[20:21], v[30:31] op_sel_hi:[1,0]
	v_mov_b32_e32 v35, v15
	v_pk_fma_f32 v[14:15], v[16:17], v[6:7], v[24:25] op_sel:[0,0,1] op_sel_hi:[1,1,0] neg_lo:[0,0,1] neg_hi:[0,0,1]
	v_pk_fma_f32 v[16:17], v[16:17], v[6:7], v[24:25] op_sel:[0,0,1] op_sel_hi:[1,0,0]
	v_mov_b32_e32 v27, v19
	v_pk_fma_f32 v[18:19], v[20:21], v[2:3], v[28:29] op_sel:[0,0,1] op_sel_hi:[1,1,0] neg_lo:[0,0,1] neg_hi:[0,0,1]
	v_pk_fma_f32 v[20:21], v[20:21], v[2:3], v[28:29] op_sel:[0,0,1] op_sel_hi:[1,0,0]
	v_mov_b32_e32 v15, v17
	v_mov_b32_e32 v19, v21
	v_pk_add_f32 v[16:17], v[12:13], v[34:35]
	v_pk_add_f32 v[20:21], v[14:15], v[26:27]
	;; [unrolled: 1-line block ×4, first 2 shown]
	v_pk_add_f32 v[28:29], v[34:35], v[18:19] neg_lo:[0,1] neg_hi:[0,1]
	v_pk_add_f32 v[30:31], v[14:15], v[26:27] neg_lo:[0,1] neg_hi:[0,1]
	;; [unrolled: 1-line block ×4, first 2 shown]
	v_pk_fma_f32 v[20:21], v[20:21], 0.5, v[12:13] op_sel_hi:[1,0,1] neg_lo:[1,0,0] neg_hi:[1,0,0]
	v_pk_add_f32 v[16:17], v[16:17], v[26:27]
	v_pk_fma_f32 v[12:13], v[38:39], 0.5, v[12:13] op_sel_hi:[1,0,1] neg_lo:[1,0,0] neg_hi:[1,0,0]
	v_pk_add_f32 v[14:15], v[14:15], v[34:35] neg_lo:[0,1] neg_hi:[0,1]
	v_pk_add_f32 v[34:35], v[26:27], v[18:19] neg_lo:[0,1] neg_hi:[0,1]
	v_pk_add_f32 v[36:37], v[24:25], v[36:37]
	v_pk_add_f32 v[24:25], v[16:17], v[18:19]
	v_pk_fma_f32 v[16:17], v[28:29], s[0:1], v[20:21] op_sel:[1,0,0] op_sel_hi:[0,0,1]
	v_pk_fma_f32 v[18:19], v[28:29], s[0:1], v[20:21] op_sel:[1,0,0] op_sel_hi:[0,0,1] neg_lo:[1,0,0] neg_hi:[1,0,0]
	v_pk_fma_f32 v[20:21], v[30:31], s[0:1], v[12:13] op_sel:[1,0,0] op_sel_hi:[0,0,1] neg_lo:[1,0,0] neg_hi:[1,0,0]
	v_pk_fma_f32 v[12:13], v[30:31], s[0:1], v[12:13] op_sel:[1,0,0] op_sel_hi:[0,0,1]
	v_pk_fma_f32 v[18:19], v[30:31], s[12:13], v[18:19] op_sel:[1,0,0] op_sel_hi:[0,0,1] neg_lo:[1,0,0] neg_hi:[1,0,0]
	v_pk_fma_f32 v[16:17], v[30:31], s[12:13], v[16:17] op_sel:[1,0,0] op_sel_hi:[0,0,1]
	;; [unrolled: 2-line block ×3, first 2 shown]
	v_pk_add_f32 v[14:15], v[14:15], v[34:35]
	v_mov_b32_e32 v26, v16
	v_mov_b32_e32 v27, v19
	;; [unrolled: 1-line block ×6, first 2 shown]
	v_pk_fma_f32 v[26:27], v[36:37], s[14:15], v[26:27] op_sel_hi:[1,0,1]
	v_pk_fma_f32 v[20:21], v[36:37], s[14:15], v[18:19] op_sel_hi:[1,0,1]
	v_pk_fma_f32 v[28:29], v[14:15], s[14:15], v[16:17] op_sel_hi:[1,0,1]
	v_pk_fma_f32 v[30:31], v[14:15], s[14:15], v[12:13] op_sel_hi:[1,0,1]
	v_cmp_gt_u16_e64 s[0:1], 40, v33
	ds_write2_b64 v57, v[24:25], v[26:27] offset1:8
	ds_write2_b64 v57, v[28:29], v[30:31] offset0:16 offset1:24
	ds_write_b64 v57, v[20:21] offset:256
	s_waitcnt lgkmcnt(0)
	s_barrier
	s_and_saveexec_b64 s[12:13], s[0:1]
	s_cbranch_execz .LBB0_9
; %bb.8:
	ds_read2_b64 v[24:27], v55 offset1:40
	ds_read2_b64 v[28:31], v55 offset0:80 offset1:120
	ds_read2_b64 v[20:23], v55 offset0:160 offset1:200
.LBB0_9:
	s_or_b64 exec, exec, s[12:13]
	v_subrev_u32_e32 v12, 40, v33
	v_cndmask_b32_e64 v12, v12, v33, s[0:1]
	v_mul_hi_i32_i24_e32 v13, 40, v12
	v_mul_i32_i24_e32 v12, 40, v12
	v_lshl_add_u64 v[36:37], s[10:11], 0, v[12:13]
	global_load_dwordx4 v[12:15], v[36:37], off offset:256
	global_load_dwordx4 v[16:19], v[36:37], off offset:272
	global_load_dwordx2 v[34:35], v[36:37], off offset:288
	s_waitcnt lgkmcnt(0)
	v_mov_b32_e32 v36, v23
	s_mov_b32 s10, 0x3f5db3d7
	s_mov_b32 s12, 0.5
	s_mov_b32 s13, s10
	s_waitcnt vmcnt(2)
	v_pk_mul_f32 v[38:39], v[26:27], v[12:13] op_sel:[1,0]
	v_pk_mul_f32 v[40:41], v[28:29], v[14:15] op_sel:[1,0]
	s_waitcnt vmcnt(1)
	v_pk_mul_f32 v[42:43], v[30:31], v[16:17] op_sel:[1,0]
	v_pk_mul_f32 v[44:45], v[20:21], v[18:19] op_sel:[1,0]
	s_waitcnt vmcnt(0)
	v_pk_mul_f32 v[36:37], v[36:37], v[34:35] op_sel_hi:[0,1]
	v_pk_fma_f32 v[46:47], v[26:27], v[12:13], v[38:39] op_sel:[0,0,1] op_sel_hi:[1,1,0] neg_lo:[0,0,1] neg_hi:[0,0,1]
	v_pk_fma_f32 v[26:27], v[26:27], v[12:13], v[38:39] op_sel:[0,0,1] op_sel_hi:[0,1,0]
	v_pk_fma_f32 v[38:39], v[28:29], v[14:15], v[40:41] op_sel:[0,0,1] op_sel_hi:[1,1,0] neg_lo:[0,0,1] neg_hi:[0,0,1]
	v_pk_fma_f32 v[28:29], v[28:29], v[14:15], v[40:41] op_sel:[0,0,1] op_sel_hi:[0,1,0]
	;; [unrolled: 2-line block ×5, first 2 shown]
	v_mov_b32_e32 v39, v29
	v_mov_b32_e32 v41, v31
	;; [unrolled: 1-line block ×5, first 2 shown]
	v_pk_add_f32 v[20:21], v[24:25], v[38:39]
	v_pk_add_f32 v[22:23], v[38:39], v[42:43]
	v_pk_add_f32 v[26:27], v[38:39], v[42:43] neg_lo:[0,1] neg_hi:[0,1]
	v_pk_add_f32 v[30:31], v[40:41], v[44:45]
	v_pk_add_f32 v[28:29], v[46:47], v[40:41]
	v_pk_add_f32 v[36:37], v[40:41], v[44:45] neg_lo:[0,1] neg_hi:[0,1]
	v_pk_add_f32 v[38:39], v[20:21], v[42:43]
	v_pk_fma_f32 v[20:21], v[22:23], 0.5, v[24:25] op_sel_hi:[1,0,1] neg_lo:[1,0,0] neg_hi:[1,0,0]
	v_pk_mul_f32 v[22:23], v[26:27], s[10:11] op_sel_hi:[1,0]
	v_pk_fma_f32 v[26:27], v[30:31], 0.5, v[46:47] op_sel_hi:[1,0,1] neg_lo:[1,0,0] neg_hi:[1,0,0]
	v_pk_add_f32 v[24:25], v[28:29], v[44:45]
	v_pk_add_f32 v[28:29], v[20:21], v[22:23] op_sel:[0,1] op_sel_hi:[1,0]
	v_pk_add_f32 v[30:31], v[20:21], v[22:23] op_sel:[0,1] op_sel_hi:[1,0] neg_lo:[0,1] neg_hi:[0,1]
	v_pk_fma_f32 v[22:23], v[36:37], s[10:11], v[26:27] op_sel:[0,0,1] op_sel_hi:[1,0,0]
	v_pk_fma_f32 v[36:37], v[36:37], s[10:11], v[26:27] op_sel:[0,0,1] op_sel_hi:[1,0,0] neg_lo:[1,0,0] neg_hi:[1,0,0]
	s_mov_b32 s11, s12
	v_pk_add_f32 v[20:21], v[38:39], v[24:25]
	v_pk_add_f32 v[26:27], v[38:39], v[24:25] neg_lo:[0,1] neg_hi:[0,1]
	v_mov_b32_e32 v24, v22
	v_mov_b32_e32 v25, v37
	v_pk_mul_f32 v[22:23], v[22:23], s[12:13] op_sel:[1,0]
	v_mov_b32_e32 v38, v28
	v_mov_b32_e32 v39, v31
	;; [unrolled: 1-line block ×3, first 2 shown]
	v_pk_fma_f32 v[28:29], v[36:37], s[10:11], v[22:23]
	v_pk_fma_f32 v[22:23], v[36:37], s[10:11], v[22:23] op_sel_hi:[0,1,1] neg_lo:[0,0,1] neg_hi:[0,0,1]
	s_mov_b32 s11, 0xbf5db3d7
	v_pk_mul_f32 v[36:37], v[24:25], 0.5 op_sel_hi:[1,0]
	v_mov_b32_e32 v29, v23
	v_pk_fma_f32 v[36:37], v[24:25], s[10:11], v[36:37] op_sel:[0,0,1] op_sel_hi:[1,1,0] neg_lo:[0,0,1] neg_hi:[0,0,1]
	v_pk_add_f32 v[22:23], v[38:39], v[28:29]
	v_pk_add_f32 v[24:25], v[30:31], v[36:37]
	v_pk_add_f32 v[28:29], v[38:39], v[28:29] neg_lo:[0,1] neg_hi:[0,1]
	v_pk_add_f32 v[30:31], v[30:31], v[36:37] neg_lo:[0,1] neg_hi:[0,1]
	s_and_saveexec_b64 s[10:11], s[0:1]
	s_cbranch_execz .LBB0_11
; %bb.10:
	v_lshl_add_u32 v36, v54, 3, v52
	ds_write2_b64 v36, v[20:21], v[22:23] offset1:40
	ds_write2_b64 v36, v[24:25], v[26:27] offset0:80 offset1:120
	ds_write2_b64 v36, v[28:29], v[30:31] offset0:160 offset1:200
.LBB0_11:
	s_or_b64 exec, exec, s[10:11]
	s_waitcnt lgkmcnt(0)
	s_barrier
	s_and_saveexec_b64 s[10:11], vcc
	s_cbranch_execz .LBB0_13
; %bb.12:
	global_load_dwordx2 v[36:37], v52, s[2:3] offset:1920
	s_add_u32 s12, s2, 0x780
	s_addc_u32 s13, s3, 0
	global_load_dwordx2 v[48:49], v52, s[12:13] offset:240
	global_load_dwordx2 v[50:51], v52, s[12:13] offset:480
	global_load_dwordx2 v[58:59], v52, s[12:13] offset:720
	global_load_dwordx2 v[60:61], v52, s[12:13] offset:960
	global_load_dwordx2 v[62:63], v52, s[12:13] offset:1200
	global_load_dwordx2 v[64:65], v52, s[12:13] offset:1440
	global_load_dwordx2 v[66:67], v52, s[12:13] offset:1680
	v_lshl_add_u32 v42, v33, 3, v53
	ds_read_b64 v[38:39], v42
	v_add_u32_e32 v72, v53, v52
	s_waitcnt vmcnt(7) lgkmcnt(0)
	v_mul_f32_e32 v40, v39, v37
	v_mul_f32_e32 v41, v38, v37
	v_fma_f32 v40, v38, v36, -v40
	v_fmac_f32_e32 v41, v39, v36
	ds_write_b64 v42, v[40:41]
	ds_read2_b64 v[36:39], v72 offset0:30 offset1:60
	ds_read2_b64 v[40:43], v72 offset0:90 offset1:120
	ds_read2_b64 v[44:47], v72 offset0:150 offset1:180
	ds_read_b64 v[68:69], v72 offset:1680
	s_waitcnt vmcnt(6) lgkmcnt(3)
	v_mul_f32_e32 v70, v37, v49
	v_mul_f32_e32 v71, v36, v49
	s_waitcnt vmcnt(5)
	v_mul_f32_e32 v73, v39, v51
	v_mul_f32_e32 v49, v38, v51
	s_waitcnt vmcnt(4) lgkmcnt(2)
	v_mul_f32_e32 v74, v41, v59
	v_mul_f32_e32 v51, v40, v59
	s_waitcnt vmcnt(3)
	v_mul_f32_e32 v75, v43, v61
	v_mul_f32_e32 v59, v42, v61
	;; [unrolled: 6-line block ×3, first 2 shown]
	s_waitcnt vmcnt(0) lgkmcnt(0)
	v_mul_f32_e32 v78, v69, v67
	v_mul_f32_e32 v65, v68, v67
	v_fma_f32 v70, v36, v48, -v70
	v_fmac_f32_e32 v71, v37, v48
	v_fma_f32 v48, v38, v50, -v73
	v_fmac_f32_e32 v49, v39, v50
	;; [unrolled: 2-line block ×7, first 2 shown]
	ds_write2_b64 v72, v[70:71], v[48:49] offset0:30 offset1:60
	ds_write2_b64 v72, v[50:51], v[58:59] offset0:90 offset1:120
	;; [unrolled: 1-line block ×3, first 2 shown]
	ds_write_b64 v72, v[64:65] offset:1680
.LBB0_13:
	s_or_b64 exec, exec, s[10:11]
	s_waitcnt lgkmcnt(0)
	s_barrier
	s_and_saveexec_b64 s[10:11], vcc
	s_cbranch_execz .LBB0_15
; %bb.14:
	v_lshl_add_u32 v8, v54, 3, v52
	ds_read2_b64 v[20:23], v8 offset1:30
	ds_read2_b64 v[28:31], v8 offset0:120 offset1:150
	ds_read2_b64 v[24:27], v8 offset0:60 offset1:90
	;; [unrolled: 1-line block ×3, first 2 shown]
.LBB0_15:
	s_or_b64 exec, exec, s[10:11]
	s_waitcnt lgkmcnt(2)
	v_pk_add_f32 v[48:49], v[20:21], v[28:29] neg_lo:[0,1] neg_hi:[0,1]
	s_waitcnt lgkmcnt(0)
	v_pk_add_f32 v[50:51], v[24:25], v[8:9] neg_lo:[0,1] neg_hi:[0,1]
	v_pk_add_f32 v[8:9], v[22:23], v[30:31] neg_lo:[0,1] neg_hi:[0,1]
	;; [unrolled: 1-line block ×3, first 2 shown]
	v_mov_b32_e32 v10, v51
	v_mov_b32_e32 v30, v48
	;; [unrolled: 1-line block ×3, first 2 shown]
	v_pk_add_f32 v[28:29], v[10:11], v[48:49]
	v_pk_add_f32 v[10:11], v[48:49], v[30:31] neg_lo:[0,1] neg_hi:[0,1]
	v_mov_b32_e32 v58, v8
	v_mov_b32_e32 v10, v47
	;; [unrolled: 1-line block ×4, first 2 shown]
	v_pk_add_f32 v[30:31], v[10:11], v[8:9]
	v_pk_add_f32 v[10:11], v[8:9], v[58:59] neg_lo:[0,1] neg_hi:[0,1]
	v_pk_fma_f32 v[44:45], v[48:49], 2.0, v[28:29] op_sel_hi:[1,0,1] neg_lo:[0,0,1] neg_hi:[0,0,1]
	v_mov_b32_e32 v31, v11
	v_pk_fma_f32 v[10:11], v[8:9], 2.0, v[30:31] op_sel_hi:[1,0,1] neg_lo:[0,0,1] neg_hi:[0,0,1]
	s_mov_b32 s12, 0x3f3504f3
	v_pk_mul_f32 v[58:59], v[10:11], s[12:13] op_sel_hi:[1,0]
	v_pk_fma_f32 v[60:61], v[10:11], s[12:13], v[44:45] op_sel_hi:[1,0,1] neg_lo:[1,0,0] neg_hi:[1,0,0]
	v_mov_b32_e32 v42, v4
	v_pk_add_f32 v[10:11], v[60:61], v[58:59] op_sel:[0,1] op_sel_hi:[1,0]
	v_pk_add_f32 v[58:59], v[60:61], v[58:59] op_sel:[0,1] op_sel_hi:[1,0] neg_lo:[0,1] neg_hi:[0,1]
	v_mov_b32_e32 v43, v4
	v_mov_b32_e32 v4, v5
	;; [unrolled: 1-line block ×12, first 2 shown]
	s_barrier
	s_and_saveexec_b64 s[10:11], vcc
	s_cbranch_execz .LBB0_17
; %bb.16:
	v_pk_fma_f32 v[20:21], v[20:21], 2.0, v[48:49] op_sel_hi:[1,0,1] neg_lo:[0,0,1] neg_hi:[0,0,1]
	v_pk_fma_f32 v[24:25], v[24:25], 2.0, v[50:51] op_sel_hi:[1,0,1] neg_lo:[0,0,1] neg_hi:[0,0,1]
	;; [unrolled: 1-line block ×4, first 2 shown]
	v_pk_add_f32 v[24:25], v[20:21], v[24:25] neg_lo:[0,1] neg_hi:[0,1]
	v_pk_add_f32 v[26:27], v[8:9], v[22:23] neg_lo:[0,1] neg_hi:[0,1]
	v_pk_fma_f32 v[20:21], v[20:21], 2.0, v[24:25] op_sel_hi:[1,0,1] neg_lo:[0,0,1] neg_hi:[0,0,1]
	v_pk_fma_f32 v[8:9], v[8:9], 2.0, v[26:27] op_sel_hi:[1,0,1] neg_lo:[0,0,1] neg_hi:[0,0,1]
	v_add_lshl_u32 v56, v54, v56, 3
	v_pk_add_f32 v[8:9], v[20:21], v[8:9] neg_lo:[0,1] neg_hi:[0,1]
	v_pk_fma_f32 v[22:23], v[44:45], 2.0, v[10:11] op_sel_hi:[1,0,1] neg_lo:[0,0,1] neg_hi:[0,0,1]
	v_pk_fma_f32 v[20:21], v[20:21], 2.0, v[8:9] op_sel_hi:[1,0,1] neg_lo:[0,0,1] neg_hi:[0,0,1]
	ds_write_b128 v56, v[20:23]
	v_pk_add_f32 v[20:21], v[24:25], v[26:27] op_sel:[0,1] op_sel_hi:[1,0]
	v_pk_add_f32 v[44:45], v[24:25], v[26:27] op_sel:[0,1] op_sel_hi:[1,0] neg_lo:[0,1] neg_hi:[0,1]
	v_pk_mul_f32 v[26:27], v[30:31], s[12:13] op_sel_hi:[1,0]
	v_pk_fma_f32 v[30:31], v[30:31], s[12:13], v[28:29] op_sel_hi:[1,0,1]
	v_mov_b32_e32 v21, v45
	v_pk_add_f32 v[22:23], v[30:31], v[26:27] op_sel:[0,1] op_sel_hi:[1,0]
	v_pk_add_f32 v[30:31], v[30:31], v[26:27] op_sel:[0,1] op_sel_hi:[1,0] neg_lo:[0,1] neg_hi:[0,1]
	v_pk_fma_f32 v[24:25], v[24:25], 2.0, v[20:21] op_sel_hi:[1,0,1] neg_lo:[0,0,1] neg_hi:[0,0,1]
	v_mov_b32_e32 v23, v31
	v_pk_fma_f32 v[26:27], v[28:29], 2.0, v[22:23] op_sel_hi:[1,0,1] neg_lo:[0,0,1] neg_hi:[0,0,1]
	ds_write_b128 v56, v[24:27] offset:16
	ds_write_b128 v56, v[8:11] offset:32
	ds_write_b128 v56, v[20:23] offset:48
.LBB0_17:
	s_or_b64 exec, exec, s[10:11]
	s_waitcnt lgkmcnt(0)
	s_barrier
	ds_read2_b64 v[20:23], v55 offset1:48
	ds_read2_b64 v[24:27], v55 offset0:96 offset1:144
	ds_read_b64 v[8:9], v55 offset:1536
	s_mov_b32 s10, 0x3f737871
	s_mov_b32 s12, 0x3f167918
	s_waitcnt lgkmcnt(2)
	v_pk_mul_f32 v[4:5], v[4:5], v[22:23]
	s_waitcnt lgkmcnt(1)
	v_pk_mul_f32 v[0:1], v[0:1], v[26:27]
	v_pk_fma_f32 v[28:29], v[42:43], v[22:23], v[4:5] op_sel:[0,0,1] op_sel_hi:[1,1,0]
	v_pk_fma_f32 v[4:5], v[42:43], v[22:23], v[4:5] op_sel:[0,0,1] op_sel_hi:[1,1,0] neg_lo:[0,0,1] neg_hi:[0,0,1]
	s_waitcnt lgkmcnt(0)
	v_mov_b32_e32 v29, v5
	v_pk_mul_f32 v[4:5], v[6:7], v[24:25]
	s_barrier
	v_pk_fma_f32 v[6:7], v[40:41], v[24:25], v[4:5] op_sel:[0,0,1] op_sel_hi:[1,1,0]
	v_pk_fma_f32 v[4:5], v[40:41], v[24:25], v[4:5] op_sel:[0,0,1] op_sel_hi:[1,1,0] neg_lo:[0,0,1] neg_hi:[0,0,1]
	s_nop 0
	v_mov_b32_e32 v7, v5
	v_pk_fma_f32 v[4:5], v[38:39], v[26:27], v[0:1] op_sel:[0,0,1] op_sel_hi:[1,1,0]
	v_pk_fma_f32 v[0:1], v[38:39], v[26:27], v[0:1] op_sel:[0,0,1] op_sel_hi:[1,1,0] neg_lo:[0,0,1] neg_hi:[0,0,1]
	s_nop 0
	v_mov_b32_e32 v5, v1
	v_pk_mul_f32 v[0:1], v[2:3], v[8:9]
	v_pk_add_f32 v[2:3], v[6:7], v[4:5]
	v_pk_fma_f32 v[22:23], v[36:37], v[8:9], v[0:1] op_sel:[0,0,1] op_sel_hi:[1,1,0]
	v_pk_fma_f32 v[0:1], v[36:37], v[8:9], v[0:1] op_sel:[0,0,1] op_sel_hi:[1,1,0] neg_lo:[0,0,1] neg_hi:[0,0,1]
	v_pk_fma_f32 v[2:3], v[2:3], 0.5, v[20:21] op_sel_hi:[1,0,1] neg_lo:[1,0,0] neg_hi:[1,0,0]
	v_mov_b32_e32 v23, v1
	v_pk_add_f32 v[24:25], v[28:29], v[22:23] neg_lo:[0,1] neg_hi:[0,1]
	v_pk_add_f32 v[26:27], v[6:7], v[4:5] neg_lo:[0,1] neg_hi:[0,1]
	v_pk_mul_f32 v[8:9], v[24:25], s[10:11] op_sel_hi:[1,0]
	v_pk_add_f32 v[36:37], v[28:29], v[6:7] neg_lo:[0,1] neg_hi:[0,1]
	v_pk_add_f32 v[38:39], v[22:23], v[4:5] neg_lo:[0,1] neg_hi:[0,1]
	v_pk_mul_f32 v[30:31], v[26:27], s[12:13] op_sel_hi:[1,0]
	v_pk_add_f32 v[36:37], v[36:37], v[38:39]
	v_pk_add_f32 v[38:39], v[2:3], v[8:9] op_sel:[0,1] op_sel_hi:[1,0] neg_lo:[0,1] neg_hi:[0,1]
	v_pk_add_f32 v[2:3], v[2:3], v[8:9] op_sel:[0,1] op_sel_hi:[1,0]
	v_pk_add_f32 v[0:1], v[20:21], v[28:29]
	v_pk_add_f32 v[8:9], v[2:3], v[30:31] op_sel:[0,1] op_sel_hi:[1,0]
	v_pk_add_f32 v[30:31], v[38:39], v[30:31] op_sel:[0,1] op_sel_hi:[1,0] neg_lo:[0,1] neg_hi:[0,1]
	v_pk_add_f32 v[0:1], v[0:1], v[6:7]
	v_mov_b32_e32 v2, v30
	v_mov_b32_e32 v3, v9
	;; [unrolled: 1-line block ×3, first 2 shown]
	v_pk_add_f32 v[30:31], v[28:29], v[22:23]
	v_pk_add_f32 v[0:1], v[0:1], v[4:5]
	v_pk_fma_f32 v[20:21], v[30:31], 0.5, v[20:21] op_sel_hi:[1,0,1] neg_lo:[1,0,0] neg_hi:[1,0,0]
	v_pk_mul_f32 v[26:27], v[26:27], s[10:11] op_sel_hi:[1,0]
	v_pk_add_f32 v[6:7], v[6:7], v[28:29] neg_lo:[0,1] neg_hi:[0,1]
	v_pk_add_f32 v[4:5], v[4:5], v[22:23] neg_lo:[0,1] neg_hi:[0,1]
	v_pk_mul_f32 v[24:25], v[24:25], s[12:13] op_sel_hi:[1,0]
	v_pk_add_f32 v[6:7], v[6:7], v[4:5]
	v_pk_add_f32 v[4:5], v[20:21], v[26:27] op_sel:[0,1] op_sel_hi:[1,0]
	v_pk_add_f32 v[20:21], v[20:21], v[26:27] op_sel:[0,1] op_sel_hi:[1,0] neg_lo:[0,1] neg_hi:[0,1]
	v_pk_add_f32 v[0:1], v[0:1], v[22:23]
	v_pk_add_f32 v[20:21], v[20:21], v[24:25] op_sel:[0,1] op_sel_hi:[1,0]
	v_pk_add_f32 v[22:23], v[4:5], v[24:25] op_sel:[0,1] op_sel_hi:[1,0] neg_lo:[0,1] neg_hi:[0,1]
	v_mov_b32_e32 v5, v21
	v_mov_b32_e32 v4, v22
	;; [unrolled: 1-line block ×3, first 2 shown]
	v_pk_fma_f32 v[2:3], v[36:37], s[14:15], v[2:3] op_sel_hi:[1,0,1]
	v_pk_fma_f32 v[8:9], v[36:37], s[14:15], v[8:9] op_sel_hi:[1,0,1]
	;; [unrolled: 1-line block ×4, first 2 shown]
	ds_write2_b64 v57, v[0:1], v[2:3] offset1:8
	ds_write2_b64 v57, v[4:5], v[6:7] offset0:16 offset1:24
	ds_write_b64 v57, v[8:9] offset:256
	s_waitcnt lgkmcnt(0)
	s_barrier
	s_and_saveexec_b64 s[10:11], s[0:1]
	s_cbranch_execz .LBB0_19
; %bb.18:
	ds_read2_b64 v[0:3], v55 offset1:40
	ds_read2_b64 v[4:7], v55 offset0:80 offset1:120
	ds_read2_b64 v[8:11], v55 offset0:160 offset1:200
.LBB0_19:
	s_or_b64 exec, exec, s[10:11]
	s_and_saveexec_b64 s[10:11], s[0:1]
	s_cbranch_execz .LBB0_21
; %bb.20:
	s_waitcnt lgkmcnt(1)
	v_pk_mul_f32 v[20:21], v[14:15], v[4:5] op_sel:[0,1]
	s_waitcnt lgkmcnt(0)
	v_pk_mul_f32 v[22:23], v[18:19], v[8:9] op_sel:[0,1]
	v_pk_fma_f32 v[30:31], v[14:15], v[4:5], v[20:21] op_sel:[0,0,1] op_sel_hi:[1,1,0]
	v_pk_fma_f32 v[4:5], v[14:15], v[4:5], v[20:21] op_sel:[0,0,1] op_sel_hi:[1,0,0] neg_lo:[1,0,0] neg_hi:[1,0,0]
	v_pk_mul_f32 v[26:27], v[16:17], v[6:7] op_sel:[0,1]
	v_mov_b32_e32 v28, v11
	v_mov_b32_e32 v31, v5
	v_pk_fma_f32 v[4:5], v[18:19], v[8:9], v[22:23] op_sel:[0,0,1] op_sel_hi:[1,1,0]
	v_pk_fma_f32 v[8:9], v[18:19], v[8:9], v[22:23] op_sel:[0,0,1] op_sel_hi:[1,0,0] neg_lo:[1,0,0] neg_hi:[1,0,0]
	v_pk_mul_f32 v[28:29], v[34:35], v[28:29] op_sel_hi:[1,0]
	v_mov_b32_e32 v5, v9
	v_pk_fma_f32 v[8:9], v[16:17], v[6:7], v[26:27] op_sel:[0,0,1] op_sel_hi:[1,1,0]
	v_pk_fma_f32 v[6:7], v[16:17], v[6:7], v[26:27] op_sel:[0,0,1] op_sel_hi:[1,0,0] neg_lo:[1,0,0] neg_hi:[1,0,0]
	v_pk_mul_f32 v[24:25], v[12:13], v[2:3] op_sel:[0,1]
	v_mov_b32_e32 v9, v7
	v_pk_fma_f32 v[6:7], v[34:35], v[10:11], v[28:29] op_sel:[0,0,1] op_sel_hi:[1,1,0]
	v_pk_fma_f32 v[10:11], v[34:35], v[10:11], v[28:29] op_sel:[0,0,1] op_sel_hi:[1,0,0] neg_lo:[1,0,0] neg_hi:[1,0,0]
	v_pk_fma_f32 v[14:15], v[12:13], v[2:3], v[24:25] op_sel:[0,0,1] op_sel_hi:[1,0,0]
	v_mov_b32_e32 v7, v11
	v_pk_fma_f32 v[2:3], v[12:13], v[2:3], v[24:25] op_sel:[0,0,1] op_sel_hi:[1,0,0] neg_lo:[1,0,0] neg_hi:[1,0,0]
	v_pk_add_f32 v[10:11], v[6:7], v[8:9]
	v_mov_b32_e32 v2, v14
	v_mov_b32_e32 v15, v3
	v_fmac_f32_e32 v2, -0.5, v10
	v_pk_add_f32 v[12:13], v[8:9], v[6:7] neg_lo:[0,1] neg_hi:[0,1]
	v_fmac_f32_e32 v3, -0.5, v11
	v_fmamk_f32 v10, v13, 0x3f5db3d7, v2
	v_fmamk_f32 v16, v12, 0xbf5db3d7, v3
	v_fmac_f32_e32 v2, 0xbf5db3d7, v13
	v_fmac_f32_e32 v3, 0x3f5db3d7, v12
	v_pk_add_f32 v[12:13], v[30:31], v[0:1]
	s_mov_b32 s12, 0x3f5db3d7
	v_pk_add_f32 v[12:13], v[4:5], v[12:13]
	v_pk_add_f32 v[8:9], v[8:9], v[14:15]
	;; [unrolled: 1-line block ×3, first 2 shown]
	v_pk_add_f32 v[4:5], v[30:31], v[4:5] neg_lo:[0,1] neg_hi:[0,1]
	v_pk_fma_f32 v[0:1], -0.5, v[14:15], v[0:1] op_sel_hi:[0,1,1]
	v_pk_mul_f32 v[4:5], v[4:5], s[12:13] op_sel_hi:[1,0]
	s_mov_b32 s14, 0.5
	v_pk_add_f32 v[14:15], v[0:1], v[4:5] op_sel:[0,1] op_sel_hi:[1,0] neg_lo:[0,1] neg_hi:[0,1]
	v_pk_add_f32 v[0:1], v[0:1], v[4:5] op_sel:[0,1] op_sel_hi:[1,0]
	v_mov_b32_e32 v4, v14
	v_mov_b32_e32 v14, v3
	s_mov_b32 s13, s14
	s_mov_b32 s15, s12
	v_pk_mul_f32 v[18:19], v[14:15], s[12:13] op_sel_hi:[0,1]
	v_pk_fma_f32 v[20:21], v[2:3], s[14:15], v[18:19] neg_lo:[0,0,1] neg_hi:[0,0,1]
	v_pk_fma_f32 v[2:3], v[2:3], s[14:15], v[18:19] op_sel_hi:[0,1,1]
	v_pk_add_f32 v[6:7], v[6:7], v[8:9]
	v_mov_b32_e32 v5, v1
	v_mov_b32_e32 v21, v3
	v_lshl_add_u32 v36, v54, 3, v52
	v_pk_add_f32 v[8:9], v[12:13], v[6:7]
	v_pk_add_f32 v[2:3], v[4:5], v[20:21]
	s_mov_b32 s0, -0.5
	ds_write2_b64 v36, v[8:9], v[2:3] offset1:40
	s_mov_b32 s1, s12
	v_pk_mul_f32 v[2:3], v[16:17], s[12:13] op_sel_hi:[0,1]
	v_pk_fma_f32 v[2:3], v[10:11], s[0:1], v[2:3] op_sel_hi:[0,1,1] neg_lo:[0,0,1] neg_hi:[0,0,1]
	v_mov_b32_e32 v1, v15
	v_pk_add_f32 v[8:9], v[0:1], v[2:3]
	v_pk_add_f32 v[6:7], v[12:13], v[6:7] neg_lo:[0,1] neg_hi:[0,1]
	v_pk_add_f32 v[4:5], v[4:5], v[20:21] neg_lo:[0,1] neg_hi:[0,1]
	;; [unrolled: 1-line block ×3, first 2 shown]
	ds_write2_b64 v36, v[8:9], v[6:7] offset0:80 offset1:120
	ds_write2_b64 v36, v[4:5], v[0:1] offset0:160 offset1:200
.LBB0_21:
	s_or_b64 exec, exec, s[10:11]
	s_waitcnt lgkmcnt(0)
	s_barrier
	s_and_b64 exec, exec, vcc
	s_cbranch_execz .LBB0_23
; %bb.22:
	global_load_dwordx2 v[8:9], v52, s[2:3]
	global_load_dwordx2 v[10:11], v52, s[2:3] offset:240
	global_load_dwordx2 v[12:13], v52, s[2:3] offset:480
	;; [unrolled: 1-line block ×7, first 2 shown]
	v_mad_u64_u32 v[20:21], s[0:1], s6, v32, 0
	v_mov_b32_e32 v16, s8
	v_mov_b32_e32 v17, s9
	v_lshl_add_u32 v31, v33, 3, v53
	v_mad_u64_u32 v[22:23], s[8:9], s4, v33, 0
	v_add_u32_e32 v35, v53, v52
	v_mov_b32_e32 v30, v21
	v_mov_b32_e32 v34, v23
	ds_read2_b64 v[0:3], v35 offset0:30 offset1:60
	ds_read2_b64 v[4:7], v35 offset0:90 offset1:120
	ds_read_b64 v[36:37], v31
	ds_read_b64 v[38:39], v35 offset:1680
	v_mad_u64_u32 v[30:31], s[2:3], s7, v32, v[30:31]
	v_mad_u64_u32 v[32:33], s[2:3], s5, v33, v[34:35]
	v_mov_b32_e32 v21, v30
	v_mov_b32_e32 v23, v32
	v_lshl_add_u64 v[16:17], v[20:21], 3, v[16:17]
	v_mov_b32_e32 v40, 0xf0
	v_lshl_add_u64 v[16:17], v[22:23], 3, v[16:17]
	s_mul_i32 s6, s5, 0xf0
	v_mad_u64_u32 v[20:21], s[2:3], s4, v40, v[16:17]
	s_mov_b32 s0, 0x11111111
	v_add_u32_e32 v21, s6, v21
	s_mov_b32 s1, 0x3f711111
	v_mad_u64_u32 v[22:23], s[2:3], s4, v40, v[20:21]
	v_add_u32_e32 v23, s6, v23
	v_mad_u64_u32 v[30:31], s[2:3], s4, v40, v[22:23]
	v_add_u32_e32 v31, s6, v31
	s_waitcnt vmcnt(7) lgkmcnt(1)
	v_mul_f32_e32 v32, v37, v9
	v_mul_f32_e32 v9, v36, v9
	s_waitcnt vmcnt(6)
	v_mul_f32_e32 v33, v1, v11
	v_mul_f32_e32 v11, v0, v11
	s_waitcnt vmcnt(5)
	;; [unrolled: 3-line block ×3, first 2 shown]
	v_mul_f32_e32 v41, v5, v15
	v_mul_f32_e32 v15, v4, v15
	v_fmac_f32_e32 v32, v36, v8
	v_fma_f32 v8, v8, v37, -v9
	v_fmac_f32_e32 v33, v0, v10
	v_fma_f32 v9, v10, v1, -v11
	;; [unrolled: 2-line block ×4, first 2 shown]
	v_cvt_f64_f32_e32 v[0:1], v32
	v_cvt_f64_f32_e32 v[2:3], v8
	;; [unrolled: 1-line block ×8, first 2 shown]
	v_mul_f64 v[0:1], v[0:1], s[0:1]
	v_mul_f64 v[2:3], v[2:3], s[0:1]
	;; [unrolled: 1-line block ×8, first 2 shown]
	v_cvt_f32_f64_e32 v0, v[0:1]
	v_cvt_f32_f64_e32 v1, v[2:3]
	;; [unrolled: 1-line block ×8, first 2 shown]
	global_store_dwordx2 v[16:17], v[0:1], off
	global_store_dwordx2 v[20:21], v[2:3], off
	;; [unrolled: 1-line block ×4, first 2 shown]
	s_waitcnt vmcnt(7)
	v_mul_f32_e32 v0, v7, v19
	v_fmac_f32_e32 v0, v6, v18
	v_cvt_f64_f32_e32 v[0:1], v0
	v_mul_f64 v[0:1], v[0:1], s[0:1]
	v_cvt_f32_f64_e32 v4, v[0:1]
	v_mul_f32_e32 v0, v6, v19
	v_fma_f32 v0, v18, v7, -v0
	v_cvt_f64_f32_e32 v[0:1], v0
	v_mul_f64 v[0:1], v[0:1], s[0:1]
	v_cvt_f32_f64_e32 v5, v[0:1]
	ds_read2_b64 v[0:3], v35 offset0:150 offset1:180
	v_mad_u64_u32 v[6:7], s[2:3], s4, v40, v[30:31]
	v_add_u32_e32 v7, s6, v7
	global_store_dwordx2 v[6:7], v[4:5], off
	s_waitcnt vmcnt(7) lgkmcnt(0)
	v_mul_f32_e32 v4, v1, v25
	v_fmac_f32_e32 v4, v0, v24
	v_mul_f32_e32 v0, v0, v25
	v_fma_f32 v0, v24, v1, -v0
	v_cvt_f64_f32_e32 v[4:5], v4
	v_cvt_f64_f32_e32 v[0:1], v0
	v_mul_f64 v[4:5], v[4:5], s[0:1]
	v_mul_f64 v[0:1], v[0:1], s[0:1]
	v_cvt_f32_f64_e32 v4, v[4:5]
	v_cvt_f32_f64_e32 v5, v[0:1]
	v_mad_u64_u32 v[0:1], s[2:3], s4, v40, v[6:7]
	v_add_u32_e32 v1, s6, v1
	global_store_dwordx2 v[0:1], v[4:5], off
	s_waitcnt vmcnt(7)
	v_mul_f32_e32 v4, v3, v27
	v_fmac_f32_e32 v4, v2, v26
	v_mul_f32_e32 v2, v2, v27
	v_fma_f32 v2, v26, v3, -v2
	v_cvt_f64_f32_e32 v[4:5], v4
	v_cvt_f64_f32_e32 v[2:3], v2
	v_mul_f64 v[4:5], v[4:5], s[0:1]
	v_mul_f64 v[2:3], v[2:3], s[0:1]
	v_cvt_f32_f64_e32 v4, v[4:5]
	v_cvt_f32_f64_e32 v5, v[2:3]
	s_waitcnt vmcnt(6)
	v_mul_f32_e32 v2, v39, v29
	v_fmac_f32_e32 v2, v38, v28
	v_cvt_f64_f32_e32 v[2:3], v2
	v_mul_f64 v[2:3], v[2:3], s[0:1]
	v_mad_u64_u32 v[0:1], s[2:3], s4, v40, v[0:1]
	v_cvt_f32_f64_e32 v2, v[2:3]
	v_mul_f32_e32 v3, v38, v29
	v_add_u32_e32 v1, s6, v1
	v_fma_f32 v3, v28, v39, -v3
	global_store_dwordx2 v[0:1], v[4:5], off
	v_cvt_f64_f32_e32 v[4:5], v3
	v_mul_f64 v[4:5], v[4:5], s[0:1]
	v_mad_u64_u32 v[0:1], s[0:1], s4, v40, v[0:1]
	v_cvt_f32_f64_e32 v3, v[4:5]
	v_add_u32_e32 v1, s6, v1
	global_store_dwordx2 v[0:1], v[2:3], off
.LBB0_23:
	s_endpgm
	.section	.rodata,"a",@progbits
	.p2align	6, 0x0
	.amdhsa_kernel bluestein_single_fwd_len240_dim1_sp_op_CI_CI
		.amdhsa_group_segment_fixed_size 3840
		.amdhsa_private_segment_fixed_size 0
		.amdhsa_kernarg_size 104
		.amdhsa_user_sgpr_count 2
		.amdhsa_user_sgpr_dispatch_ptr 0
		.amdhsa_user_sgpr_queue_ptr 0
		.amdhsa_user_sgpr_kernarg_segment_ptr 1
		.amdhsa_user_sgpr_dispatch_id 0
		.amdhsa_user_sgpr_kernarg_preload_length 0
		.amdhsa_user_sgpr_kernarg_preload_offset 0
		.amdhsa_user_sgpr_private_segment_size 0
		.amdhsa_uses_dynamic_stack 0
		.amdhsa_enable_private_segment 0
		.amdhsa_system_sgpr_workgroup_id_x 1
		.amdhsa_system_sgpr_workgroup_id_y 0
		.amdhsa_system_sgpr_workgroup_id_z 0
		.amdhsa_system_sgpr_workgroup_info 0
		.amdhsa_system_vgpr_workitem_id 0
		.amdhsa_next_free_vgpr 79
		.amdhsa_next_free_sgpr 16
		.amdhsa_accum_offset 80
		.amdhsa_reserve_vcc 1
		.amdhsa_float_round_mode_32 0
		.amdhsa_float_round_mode_16_64 0
		.amdhsa_float_denorm_mode_32 3
		.amdhsa_float_denorm_mode_16_64 3
		.amdhsa_dx10_clamp 1
		.amdhsa_ieee_mode 1
		.amdhsa_fp16_overflow 0
		.amdhsa_tg_split 0
		.amdhsa_exception_fp_ieee_invalid_op 0
		.amdhsa_exception_fp_denorm_src 0
		.amdhsa_exception_fp_ieee_div_zero 0
		.amdhsa_exception_fp_ieee_overflow 0
		.amdhsa_exception_fp_ieee_underflow 0
		.amdhsa_exception_fp_ieee_inexact 0
		.amdhsa_exception_int_div_zero 0
	.end_amdhsa_kernel
	.text
.Lfunc_end0:
	.size	bluestein_single_fwd_len240_dim1_sp_op_CI_CI, .Lfunc_end0-bluestein_single_fwd_len240_dim1_sp_op_CI_CI
                                        ; -- End function
	.section	.AMDGPU.csdata,"",@progbits
; Kernel info:
; codeLenInByte = 5056
; NumSgprs: 22
; NumVgprs: 79
; NumAgprs: 0
; TotalNumVgprs: 79
; ScratchSize: 0
; MemoryBound: 0
; FloatMode: 240
; IeeeMode: 1
; LDSByteSize: 3840 bytes/workgroup (compile time only)
; SGPRBlocks: 2
; VGPRBlocks: 9
; NumSGPRsForWavesPerEU: 22
; NumVGPRsForWavesPerEU: 79
; AccumOffset: 80
; Occupancy: 6
; WaveLimiterHint : 1
; COMPUTE_PGM_RSRC2:SCRATCH_EN: 0
; COMPUTE_PGM_RSRC2:USER_SGPR: 2
; COMPUTE_PGM_RSRC2:TRAP_HANDLER: 0
; COMPUTE_PGM_RSRC2:TGID_X_EN: 1
; COMPUTE_PGM_RSRC2:TGID_Y_EN: 0
; COMPUTE_PGM_RSRC2:TGID_Z_EN: 0
; COMPUTE_PGM_RSRC2:TIDIG_COMP_CNT: 0
; COMPUTE_PGM_RSRC3_GFX90A:ACCUM_OFFSET: 19
; COMPUTE_PGM_RSRC3_GFX90A:TG_SPLIT: 0
	.text
	.p2alignl 6, 3212836864
	.fill 256, 4, 3212836864
	.type	__hip_cuid_f0448802add0fe9a,@object ; @__hip_cuid_f0448802add0fe9a
	.section	.bss,"aw",@nobits
	.globl	__hip_cuid_f0448802add0fe9a
__hip_cuid_f0448802add0fe9a:
	.byte	0                               ; 0x0
	.size	__hip_cuid_f0448802add0fe9a, 1

	.ident	"AMD clang version 19.0.0git (https://github.com/RadeonOpenCompute/llvm-project roc-6.4.0 25133 c7fe45cf4b819c5991fe208aaa96edf142730f1d)"
	.section	".note.GNU-stack","",@progbits
	.addrsig
	.addrsig_sym __hip_cuid_f0448802add0fe9a
	.amdgpu_metadata
---
amdhsa.kernels:
  - .agpr_count:     0
    .args:
      - .actual_access:  read_only
        .address_space:  global
        .offset:         0
        .size:           8
        .value_kind:     global_buffer
      - .actual_access:  read_only
        .address_space:  global
        .offset:         8
        .size:           8
        .value_kind:     global_buffer
      - .actual_access:  read_only
        .address_space:  global
        .offset:         16
        .size:           8
        .value_kind:     global_buffer
      - .actual_access:  read_only
        .address_space:  global
        .offset:         24
        .size:           8
        .value_kind:     global_buffer
      - .actual_access:  read_only
        .address_space:  global
        .offset:         32
        .size:           8
        .value_kind:     global_buffer
      - .offset:         40
        .size:           8
        .value_kind:     by_value
      - .address_space:  global
        .offset:         48
        .size:           8
        .value_kind:     global_buffer
      - .address_space:  global
        .offset:         56
        .size:           8
        .value_kind:     global_buffer
      - .address_space:  global
        .offset:         64
        .size:           8
        .value_kind:     global_buffer
      - .address_space:  global
        .offset:         72
        .size:           8
        .value_kind:     global_buffer
      - .offset:         80
        .size:           4
        .value_kind:     by_value
      - .address_space:  global
        .offset:         88
        .size:           8
        .value_kind:     global_buffer
      - .address_space:  global
        .offset:         96
        .size:           8
        .value_kind:     global_buffer
    .group_segment_fixed_size: 3840
    .kernarg_segment_align: 8
    .kernarg_segment_size: 104
    .language:       OpenCL C
    .language_version:
      - 2
      - 0
    .max_flat_workgroup_size: 96
    .name:           bluestein_single_fwd_len240_dim1_sp_op_CI_CI
    .private_segment_fixed_size: 0
    .sgpr_count:     22
    .sgpr_spill_count: 0
    .symbol:         bluestein_single_fwd_len240_dim1_sp_op_CI_CI.kd
    .uniform_work_group_size: 1
    .uses_dynamic_stack: false
    .vgpr_count:     79
    .vgpr_spill_count: 0
    .wavefront_size: 64
amdhsa.target:   amdgcn-amd-amdhsa--gfx950
amdhsa.version:
  - 1
  - 2
...

	.end_amdgpu_metadata
